;; amdgpu-corpus repo=ROCm/rocFFT kind=compiled arch=gfx906 opt=O3
	.text
	.amdgcn_target "amdgcn-amd-amdhsa--gfx906"
	.amdhsa_code_object_version 6
	.protected	fft_rtc_fwd_len308_factors_11_7_4_wgs_44_tpt_44_half_op_CI_CI_sbrr_dirReg ; -- Begin function fft_rtc_fwd_len308_factors_11_7_4_wgs_44_tpt_44_half_op_CI_CI_sbrr_dirReg
	.globl	fft_rtc_fwd_len308_factors_11_7_4_wgs_44_tpt_44_half_op_CI_CI_sbrr_dirReg
	.p2align	8
	.type	fft_rtc_fwd_len308_factors_11_7_4_wgs_44_tpt_44_half_op_CI_CI_sbrr_dirReg,@function
fft_rtc_fwd_len308_factors_11_7_4_wgs_44_tpt_44_half_op_CI_CI_sbrr_dirReg: ; @fft_rtc_fwd_len308_factors_11_7_4_wgs_44_tpt_44_half_op_CI_CI_sbrr_dirReg
; %bb.0:
	s_load_dwordx4 s[16:19], s[4:5], 0x18
	s_load_dwordx4 s[12:15], s[4:5], 0x0
	;; [unrolled: 1-line block ×3, first 2 shown]
	v_mul_u32_u24_e32 v1, 0x5d2, v0
	v_mov_b32_e32 v7, 0
	s_waitcnt lgkmcnt(0)
	s_load_dwordx2 s[20:21], s[16:17], 0x0
	s_load_dwordx2 s[2:3], s[18:19], 0x0
	v_cmp_lt_u64_e64 s[0:1], s[14:15], 2
	v_mov_b32_e32 v5, 0
	v_add_u32_sdwa v9, s6, v1 dst_sel:DWORD dst_unused:UNUSED_PAD src0_sel:DWORD src1_sel:WORD_1
	v_mov_b32_e32 v10, v7
	s_and_b64 vcc, exec, s[0:1]
	v_mov_b32_e32 v6, 0
	s_cbranch_vccnz .LBB0_8
; %bb.1:
	s_load_dwordx2 s[0:1], s[4:5], 0x10
	s_add_u32 s6, s18, 8
	s_addc_u32 s7, s19, 0
	s_add_u32 s22, s16, 8
	s_addc_u32 s23, s17, 0
	v_mov_b32_e32 v5, 0
	s_waitcnt lgkmcnt(0)
	s_add_u32 s24, s0, 8
	v_mov_b32_e32 v6, 0
	v_mov_b32_e32 v1, v5
	s_addc_u32 s25, s1, 0
	s_mov_b64 s[26:27], 1
	v_mov_b32_e32 v2, v6
.LBB0_2:                                ; =>This Inner Loop Header: Depth=1
	s_load_dwordx2 s[28:29], s[24:25], 0x0
                                        ; implicit-def: $vgpr3_vgpr4
	s_waitcnt lgkmcnt(0)
	v_or_b32_e32 v8, s29, v10
	v_cmp_ne_u64_e32 vcc, 0, v[7:8]
	s_and_saveexec_b64 s[0:1], vcc
	s_xor_b64 s[30:31], exec, s[0:1]
	s_cbranch_execz .LBB0_4
; %bb.3:                                ;   in Loop: Header=BB0_2 Depth=1
	v_cvt_f32_u32_e32 v3, s28
	v_cvt_f32_u32_e32 v4, s29
	s_sub_u32 s0, 0, s28
	s_subb_u32 s1, 0, s29
	v_mac_f32_e32 v3, 0x4f800000, v4
	v_rcp_f32_e32 v3, v3
	v_mul_f32_e32 v3, 0x5f7ffffc, v3
	v_mul_f32_e32 v4, 0x2f800000, v3
	v_trunc_f32_e32 v4, v4
	v_mac_f32_e32 v3, 0xcf800000, v4
	v_cvt_u32_f32_e32 v4, v4
	v_cvt_u32_f32_e32 v3, v3
	v_mul_lo_u32 v8, s0, v4
	v_mul_hi_u32 v11, s0, v3
	v_mul_lo_u32 v13, s1, v3
	v_mul_lo_u32 v12, s0, v3
	v_add_u32_e32 v8, v11, v8
	v_add_u32_e32 v8, v8, v13
	v_mul_hi_u32 v11, v3, v12
	v_mul_lo_u32 v13, v3, v8
	v_mul_hi_u32 v15, v3, v8
	v_mul_hi_u32 v14, v4, v12
	v_mul_lo_u32 v12, v4, v12
	v_mul_hi_u32 v16, v4, v8
	v_add_co_u32_e32 v11, vcc, v11, v13
	v_addc_co_u32_e32 v13, vcc, 0, v15, vcc
	v_mul_lo_u32 v8, v4, v8
	v_add_co_u32_e32 v11, vcc, v11, v12
	v_addc_co_u32_e32 v11, vcc, v13, v14, vcc
	v_addc_co_u32_e32 v12, vcc, 0, v16, vcc
	v_add_co_u32_e32 v8, vcc, v11, v8
	v_addc_co_u32_e32 v11, vcc, 0, v12, vcc
	v_add_co_u32_e32 v3, vcc, v3, v8
	v_addc_co_u32_e32 v4, vcc, v4, v11, vcc
	v_mul_lo_u32 v8, s0, v4
	v_mul_hi_u32 v11, s0, v3
	v_mul_lo_u32 v12, s1, v3
	v_mul_lo_u32 v13, s0, v3
	v_add_u32_e32 v8, v11, v8
	v_add_u32_e32 v8, v8, v12
	v_mul_lo_u32 v14, v3, v8
	v_mul_hi_u32 v15, v3, v13
	v_mul_hi_u32 v16, v3, v8
	;; [unrolled: 1-line block ×3, first 2 shown]
	v_mul_lo_u32 v13, v4, v13
	v_mul_hi_u32 v11, v4, v8
	v_add_co_u32_e32 v14, vcc, v15, v14
	v_addc_co_u32_e32 v15, vcc, 0, v16, vcc
	v_mul_lo_u32 v8, v4, v8
	v_add_co_u32_e32 v13, vcc, v14, v13
	v_addc_co_u32_e32 v12, vcc, v15, v12, vcc
	v_addc_co_u32_e32 v11, vcc, 0, v11, vcc
	v_add_co_u32_e32 v8, vcc, v12, v8
	v_addc_co_u32_e32 v11, vcc, 0, v11, vcc
	v_add_co_u32_e32 v8, vcc, v3, v8
	v_addc_co_u32_e32 v11, vcc, v4, v11, vcc
	v_mad_u64_u32 v[3:4], s[0:1], v9, v11, 0
	v_mul_hi_u32 v12, v9, v8
	v_add_co_u32_e32 v13, vcc, v12, v3
	v_addc_co_u32_e32 v14, vcc, 0, v4, vcc
	v_mad_u64_u32 v[3:4], s[0:1], v10, v8, 0
	v_mad_u64_u32 v[11:12], s[0:1], v10, v11, 0
	v_add_co_u32_e32 v3, vcc, v13, v3
	v_addc_co_u32_e32 v3, vcc, v14, v4, vcc
	v_addc_co_u32_e32 v4, vcc, 0, v12, vcc
	v_add_co_u32_e32 v8, vcc, v3, v11
	v_addc_co_u32_e32 v11, vcc, 0, v4, vcc
	v_mul_lo_u32 v12, s29, v8
	v_mul_lo_u32 v13, s28, v11
	v_mad_u64_u32 v[3:4], s[0:1], s28, v8, 0
	v_add3_u32 v4, v4, v13, v12
	v_sub_u32_e32 v12, v10, v4
	v_mov_b32_e32 v13, s29
	v_sub_co_u32_e32 v3, vcc, v9, v3
	v_subb_co_u32_e64 v12, s[0:1], v12, v13, vcc
	v_subrev_co_u32_e64 v13, s[0:1], s28, v3
	v_subbrev_co_u32_e64 v12, s[0:1], 0, v12, s[0:1]
	v_cmp_le_u32_e64 s[0:1], s29, v12
	v_cndmask_b32_e64 v14, 0, -1, s[0:1]
	v_cmp_le_u32_e64 s[0:1], s28, v13
	v_cndmask_b32_e64 v13, 0, -1, s[0:1]
	v_cmp_eq_u32_e64 s[0:1], s29, v12
	v_cndmask_b32_e64 v12, v14, v13, s[0:1]
	v_add_co_u32_e64 v13, s[0:1], 2, v8
	v_addc_co_u32_e64 v14, s[0:1], 0, v11, s[0:1]
	v_add_co_u32_e64 v15, s[0:1], 1, v8
	v_addc_co_u32_e64 v16, s[0:1], 0, v11, s[0:1]
	v_subb_co_u32_e32 v4, vcc, v10, v4, vcc
	v_cmp_ne_u32_e64 s[0:1], 0, v12
	v_cmp_le_u32_e32 vcc, s29, v4
	v_cndmask_b32_e64 v12, v16, v14, s[0:1]
	v_cndmask_b32_e64 v14, 0, -1, vcc
	v_cmp_le_u32_e32 vcc, s28, v3
	v_cndmask_b32_e64 v3, 0, -1, vcc
	v_cmp_eq_u32_e32 vcc, s29, v4
	v_cndmask_b32_e32 v3, v14, v3, vcc
	v_cmp_ne_u32_e32 vcc, 0, v3
	v_cndmask_b32_e64 v3, v15, v13, s[0:1]
	v_cndmask_b32_e32 v4, v11, v12, vcc
	v_cndmask_b32_e32 v3, v8, v3, vcc
.LBB0_4:                                ;   in Loop: Header=BB0_2 Depth=1
	s_andn2_saveexec_b64 s[0:1], s[30:31]
	s_cbranch_execz .LBB0_6
; %bb.5:                                ;   in Loop: Header=BB0_2 Depth=1
	v_cvt_f32_u32_e32 v3, s28
	s_sub_i32 s30, 0, s28
	v_rcp_iflag_f32_e32 v3, v3
	v_mul_f32_e32 v3, 0x4f7ffffe, v3
	v_cvt_u32_f32_e32 v3, v3
	v_mul_lo_u32 v4, s30, v3
	v_mul_hi_u32 v4, v3, v4
	v_add_u32_e32 v3, v3, v4
	v_mul_hi_u32 v3, v9, v3
	v_mul_lo_u32 v4, v3, s28
	v_add_u32_e32 v8, 1, v3
	v_sub_u32_e32 v4, v9, v4
	v_subrev_u32_e32 v11, s28, v4
	v_cmp_le_u32_e32 vcc, s28, v4
	v_cndmask_b32_e32 v4, v4, v11, vcc
	v_cndmask_b32_e32 v3, v3, v8, vcc
	v_add_u32_e32 v8, 1, v3
	v_cmp_le_u32_e32 vcc, s28, v4
	v_cndmask_b32_e32 v3, v3, v8, vcc
	v_mov_b32_e32 v4, v7
.LBB0_6:                                ;   in Loop: Header=BB0_2 Depth=1
	s_or_b64 exec, exec, s[0:1]
	v_mul_lo_u32 v8, v4, s28
	v_mul_lo_u32 v13, v3, s29
	v_mad_u64_u32 v[11:12], s[0:1], v3, s28, 0
	s_load_dwordx2 s[0:1], s[22:23], 0x0
	s_load_dwordx2 s[28:29], s[6:7], 0x0
	v_add3_u32 v8, v12, v13, v8
	v_sub_co_u32_e32 v9, vcc, v9, v11
	v_subb_co_u32_e32 v8, vcc, v10, v8, vcc
	s_waitcnt lgkmcnt(0)
	v_mul_lo_u32 v10, s0, v8
	v_mul_lo_u32 v11, s1, v9
	v_mad_u64_u32 v[5:6], s[0:1], s0, v9, v[5:6]
	v_mul_lo_u32 v8, s28, v8
	v_mul_lo_u32 v12, s29, v9
	v_mad_u64_u32 v[1:2], s[0:1], s28, v9, v[1:2]
	s_add_u32 s26, s26, 1
	s_addc_u32 s27, s27, 0
	s_add_u32 s6, s6, 8
	v_add3_u32 v2, v12, v2, v8
	s_addc_u32 s7, s7, 0
	v_mov_b32_e32 v8, s14
	s_add_u32 s22, s22, 8
	v_mov_b32_e32 v9, s15
	s_addc_u32 s23, s23, 0
	v_cmp_ge_u64_e32 vcc, s[26:27], v[8:9]
	s_add_u32 s24, s24, 8
	v_add3_u32 v6, v11, v6, v10
	s_addc_u32 s25, s25, 0
	s_cbranch_vccnz .LBB0_9
; %bb.7:                                ;   in Loop: Header=BB0_2 Depth=1
	v_mov_b32_e32 v10, v4
	v_mov_b32_e32 v9, v3
	s_branch .LBB0_2
.LBB0_8:
	v_mov_b32_e32 v1, v5
	v_mov_b32_e32 v3, v9
	;; [unrolled: 1-line block ×4, first 2 shown]
.LBB0_9:
	s_load_dwordx2 s[0:1], s[4:5], 0x28
	s_lshl_b64 s[14:15], s[14:15], 3
	s_add_u32 s4, s18, s14
	s_addc_u32 s5, s19, s15
                                        ; implicit-def: $vgpr17
	s_waitcnt lgkmcnt(0)
	v_cmp_gt_u64_e32 vcc, s[0:1], v[3:4]
	v_cmp_le_u64_e64 s[0:1], s[0:1], v[3:4]
	s_and_saveexec_b64 s[6:7], s[0:1]
	s_xor_b64 s[0:1], exec, s[6:7]
; %bb.10:
	s_mov_b32 s6, 0x5d1745e
	v_mul_hi_u32 v5, v0, s6
	v_mul_u32_u24_e32 v5, 44, v5
	v_sub_u32_e32 v17, v0, v5
                                        ; implicit-def: $vgpr0
                                        ; implicit-def: $vgpr5_vgpr6
; %bb.11:
	s_andn2_saveexec_b64 s[6:7], s[0:1]
	s_cbranch_execz .LBB0_13
; %bb.12:
	s_add_u32 s0, s16, s14
	s_mov_b32 s14, 0x5d1745e
	v_mul_hi_u32 v7, v0, s14
	s_addc_u32 s1, s17, s15
	s_load_dwordx2 s[0:1], s[0:1], 0x0
	v_lshlrev_b64 v[5:6], 2, v[5:6]
	v_mul_u32_u24_e32 v7, 44, v7
	v_sub_u32_e32 v17, v0, v7
	v_mad_u64_u32 v[7:8], s[14:15], s20, v17, 0
	s_waitcnt lgkmcnt(0)
	v_mul_lo_u32 v13, s1, v3
	v_mul_lo_u32 v14, s0, v4
	v_mad_u64_u32 v[9:10], s[0:1], s0, v3, 0
	v_mov_b32_e32 v0, v8
	v_mad_u64_u32 v[11:12], s[0:1], s21, v17, v[0:1]
	v_add3_u32 v10, v10, v14, v13
	v_lshlrev_b64 v[9:10], 2, v[9:10]
	v_mov_b32_e32 v8, v11
	v_mov_b32_e32 v0, s9
	v_add_co_u32_e64 v11, s[0:1], s8, v9
	v_add_u32_e32 v12, 44, v17
	v_addc_co_u32_e64 v0, s[0:1], v0, v10, s[0:1]
	v_mad_u64_u32 v[9:10], s[0:1], s20, v12, 0
	v_add_co_u32_e64 v22, s[0:1], v11, v5
	v_addc_co_u32_e64 v23, s[0:1], v0, v6, s[0:1]
	v_mov_b32_e32 v0, v10
	v_add_u32_e32 v13, 0x58, v17
	v_lshlrev_b64 v[5:6], 2, v[7:8]
	v_mad_u64_u32 v[7:8], s[0:1], s21, v12, v[0:1]
	v_mad_u64_u32 v[11:12], s[0:1], s20, v13, 0
	v_add_co_u32_e64 v5, s[0:1], v22, v5
	v_mov_b32_e32 v10, v7
	v_mov_b32_e32 v0, v12
	v_add_u32_e32 v15, 0x84, v17
	v_addc_co_u32_e64 v6, s[0:1], v23, v6, s[0:1]
	v_lshlrev_b64 v[7:8], 2, v[9:10]
	v_mad_u64_u32 v[9:10], s[0:1], s21, v13, v[0:1]
	v_mad_u64_u32 v[13:14], s[0:1], s20, v15, 0
	v_add_co_u32_e64 v7, s[0:1], v22, v7
	v_mov_b32_e32 v12, v9
	v_mov_b32_e32 v0, v14
	v_add_u32_e32 v18, 0xb0, v17
	v_addc_co_u32_e64 v8, s[0:1], v23, v8, s[0:1]
	;; [unrolled: 8-line block ×4, first 2 shown]
	v_lshlrev_b64 v[13:14], 2, v[15:16]
	v_mad_u64_u32 v[15:16], s[0:1], s21, v20, v[0:1]
	v_mad_u64_u32 v[20:21], s[0:1], s20, v24, 0
	v_add_co_u32_e64 v13, s[0:1], v22, v13
	v_mov_b32_e32 v19, v15
	v_mov_b32_e32 v0, v21
	v_addc_co_u32_e64 v14, s[0:1], v23, v14, s[0:1]
	v_lshlrev_b64 v[15:16], 2, v[18:19]
	v_mad_u64_u32 v[18:19], s[0:1], s21, v24, v[0:1]
	v_add_co_u32_e64 v15, s[0:1], v22, v15
	v_mov_b32_e32 v21, v18
	v_lshlrev_b64 v[18:19], 2, v[20:21]
	v_addc_co_u32_e64 v16, s[0:1], v23, v16, s[0:1]
	v_add_co_u32_e64 v18, s[0:1], v22, v18
	v_addc_co_u32_e64 v19, s[0:1], v23, v19, s[0:1]
	global_load_dword v0, v[5:6], off
	global_load_dword v20, v[7:8], off
	;; [unrolled: 1-line block ×7, first 2 shown]
	v_lshl_add_u32 v5, v17, 2, 0
	s_waitcnt vmcnt(5)
	ds_write2_b32 v5, v0, v20 offset1:44
	s_waitcnt vmcnt(3)
	ds_write2_b32 v5, v21, v22 offset0:88 offset1:132
	s_waitcnt vmcnt(1)
	ds_write2_b32 v5, v23, v24 offset0:176 offset1:220
	s_waitcnt vmcnt(0)
	ds_write_b32 v5, v25 offset:1056
.LBB0_13:
	s_or_b64 exec, exec, s[6:7]
	v_lshl_add_u32 v0, v17, 2, 0
	s_waitcnt lgkmcnt(0)
	; wave barrier
	s_waitcnt lgkmcnt(0)
	ds_read2_b32 v[7:8], v0 offset1:28
	ds_read_b32 v24, v0 offset:1120
	ds_read2_b32 v[11:12], v0 offset0:56 offset1:84
	ds_read2_b32 v[9:10], v0 offset0:224 offset1:252
	;; [unrolled: 1-line block ×4, first 2 shown]
	s_mov_b32 s8, 0xba0c
	s_waitcnt lgkmcnt(4)
	v_pk_add_f16 v20, v8, v24 neg_lo:[0,1] neg_hi:[0,1]
	v_pk_add_f16 v23, v24, v8
	s_waitcnt lgkmcnt(2)
	v_pk_add_f16 v5, v11, v10 neg_lo:[0,1] neg_hi:[0,1]
	v_pk_mul_f16 v6, v20, s8 op_sel_hi:[1,0]
	s_mov_b32 s14, 0xb93d
	s_movk_i32 s0, 0x3beb
	v_pk_add_f16 v22, v10, v11
	v_pk_add_f16 v19, v12, v9 neg_lo:[0,1] neg_hi:[0,1]
	v_pk_fma_f16 v29, v23, s14, v6 op_sel:[0,0,1] op_sel_hi:[1,0,0]
	v_pk_fma_f16 v30, v23, s14, v6 op_sel:[0,0,1] op_sel_hi:[1,0,0] neg_lo:[0,0,1] neg_hi:[0,0,1]
	v_pk_mul_f16 v6, v5, s0 op_sel_hi:[1,0]
	s_mov_b32 s9, 0xb08e
	s_mov_b32 s20, 0xb853
	v_pk_add_f16 v21, v9, v12
	v_pk_fma_f16 v31, v22, s9, v6 op_sel:[0,0,1] op_sel_hi:[1,0,0]
	v_pk_fma_f16 v32, v22, s9, v6 op_sel:[0,0,1] op_sel_hi:[1,0,0] neg_lo:[0,0,1] neg_hi:[0,0,1]
	v_pk_mul_f16 v6, v19, s20 op_sel_hi:[1,0]
	s_movk_i32 s17, 0x3abb
	s_mov_b32 s16, 0xb482
	s_waitcnt lgkmcnt(0)
	v_pk_add_f16 v25, v15, v14 neg_lo:[0,1] neg_hi:[0,1]
	s_movk_i32 s15, 0x3b47
	v_pk_add_f16 v26, v16, v13 neg_lo:[0,1] neg_hi:[0,1]
	v_pk_fma_f16 v33, v21, s17, v6 op_sel:[0,0,1] op_sel_hi:[1,0,0]
	v_pk_fma_f16 v34, v21, s17, v6 op_sel:[0,0,1] op_sel_hi:[1,0,0] neg_lo:[0,0,1] neg_hi:[0,0,1]
	s_mov_b32 s19, 0xbbad
	v_pk_add_f16 v27, v14, v15
	v_pk_mul_f16 v6, v25, s16 op_sel_hi:[1,0]
	s_movk_i32 s18, 0x36a6
	v_pk_add_f16 v28, v13, v16
	v_pk_mul_f16 v18, v26, s15 op_sel_hi:[1,0]
	v_pk_fma_f16 v35, v27, s19, v6 op_sel:[0,0,1] op_sel_hi:[1,0,0]
	v_pk_fma_f16 v36, v27, s19, v6 op_sel:[0,0,1] op_sel_hi:[1,0,0] neg_lo:[0,0,1] neg_hi:[0,0,1]
	v_add_f16_e32 v6, v7, v29
	v_pk_fma_f16 v37, v28, s18, v18 op_sel:[0,0,1] op_sel_hi:[1,0,0]
	v_pk_fma_f16 v38, v28, s18, v18 op_sel:[0,0,1] op_sel_hi:[1,0,0] neg_lo:[0,0,1] neg_hi:[0,0,1]
	v_add_f16_sdwa v18, v7, v30 dst_sel:DWORD dst_unused:UNUSED_PAD src0_sel:WORD_1 src1_sel:WORD_1
	v_add_f16_e32 v6, v31, v6
	v_add_f16_sdwa v18, v32, v18 dst_sel:DWORD dst_unused:UNUSED_PAD src0_sel:WORD_1 src1_sel:DWORD
	v_add_f16_e32 v6, v33, v6
	v_add_f16_sdwa v18, v34, v18 dst_sel:DWORD dst_unused:UNUSED_PAD src0_sel:WORD_1 src1_sel:DWORD
	;; [unrolled: 2-line block ×3, first 2 shown]
	v_add_f16_sdwa v18, v38, v18 dst_sel:DWORD dst_unused:UNUSED_PAD src0_sel:WORD_1 src1_sel:DWORD
	v_cmp_gt_u32_e64 s[0:1], 28, v17
	v_add_f16_e32 v6, v37, v6
	s_waitcnt lgkmcnt(0)
	; wave barrier
	s_and_saveexec_b64 s[6:7], s[0:1]
	s_cbranch_execz .LBB0_15
; %bb.14:
	v_pk_add_f16 v8, v7, v8
	v_pk_add_f16 v8, v8, v11
	;; [unrolled: 1-line block ×6, first 2 shown]
	v_lshrrev_b32_e32 v11, 16, v23
	v_pk_add_f16 v8, v8, v14
	v_mul_f16_e32 v13, 0xbb47, v20
	v_lshrrev_b32_e32 v12, 16, v22
	v_fma_f16 v14, v11, s18, v13
	v_pk_add_f16 v8, v8, v9
	v_mul_f16_e32 v9, 0xba0c, v5
	v_add_f16_sdwa v14, v7, v14 dst_sel:DWORD dst_unused:UNUSED_PAD src0_sel:WORD_1 src1_sel:DWORD
	v_pk_add_f16 v8, v8, v10
	v_fma_f16 v10, v12, s14, v9
	v_lshrrev_b32_e32 v15, 16, v21
	v_add_f16_e32 v10, v10, v14
	v_mul_f16_e32 v14, 0x3482, v19
	v_fma_f16 v16, v15, s19, v14
	v_add_f16_e32 v10, v16, v10
	v_lshrrev_b32_e32 v16, 16, v27
	v_mul_f16_e32 v39, 0x3beb, v25
	v_fma_f16 v40, v16, s9, v39
	v_add_f16_e32 v10, v40, v10
	v_lshrrev_b32_e32 v40, 16, v28
	v_mul_f16_e32 v41, 0x3853, v26
	v_fma_f16 v42, v40, s17, v41
	v_add_f16_e32 v10, v42, v10
	s_mov_b32 s0, 0xbb47
	v_mul_f16_sdwa v42, v20, s20 dst_sel:DWORD dst_unused:UNUSED_PAD src0_sel:WORD_1 src1_sel:DWORD
	v_fma_f16 v43, v23, s17, -v42
	v_mul_f16_sdwa v44, v5, s0 dst_sel:DWORD dst_unused:UNUSED_PAD src0_sel:WORD_1 src1_sel:DWORD
	v_add_f16_e32 v43, v7, v43
	v_fma_f16 v45, v22, s18, -v44
	s_mov_b32 s0, 0xbbeb
	v_add_f16_e32 v43, v45, v43
	v_mul_f16_sdwa v45, v19, s0 dst_sel:DWORD dst_unused:UNUSED_PAD src0_sel:WORD_1 src1_sel:DWORD
	v_fma_f16 v46, v21, s9, -v45
	v_add_f16_e32 v43, v46, v43
	v_mul_f16_sdwa v46, v25, s8 dst_sel:DWORD dst_unused:UNUSED_PAD src0_sel:WORD_1 src1_sel:DWORD
	v_fma_f16 v47, v27, s14, -v46
	;; [unrolled: 3-line block ×3, first 2 shown]
	s_mov_b32 s21, 0x3abb36a6
	v_add_f16_e32 v43, v48, v43
	s_mov_b32 s22, 0xbb47b853
	s_mov_b32 s23, 0x36a6b93d
	v_pk_mul_f16 v48, v23, s21
	s_mov_b32 s1, 0xffff
	s_mov_b32 s24, 0xba0cbb47
	v_pk_fma_f16 v49, v20, s22, v48 op_sel:[0,0,1] op_sel_hi:[1,1,0]
	v_pk_fma_f16 v48, v20, s22, v48 op_sel:[0,0,1] op_sel_hi:[1,1,0] neg_lo:[1,0,0] neg_hi:[1,0,0]
	v_pk_mul_f16 v50, v22, s23
	v_pk_fma_f16 v51, v5, s24, v50 op_sel:[0,0,1] op_sel_hi:[1,1,0]
	v_pk_fma_f16 v50, v5, s24, v50 op_sel:[0,0,1] op_sel_hi:[1,1,0] neg_lo:[1,0,0] neg_hi:[1,0,0]
	v_bfi_b32 v52, s1, v49, v48
	v_pk_add_f16 v52, v7, v52 op_sel:[1,0] op_sel_hi:[0,1]
	v_bfi_b32 v53, s1, v51, v50
	s_mov_b32 s21, 0xb08ebbad
	v_pk_add_f16 v52, v53, v52
	s_mov_b32 s22, 0x3482bbeb
	v_pk_mul_f16 v53, v21, s21
	v_pk_fma_f16 v54, v19, s22, v53 op_sel:[0,0,1] op_sel_hi:[1,1,0]
	v_pk_fma_f16 v53, v19, s22, v53 op_sel:[0,0,1] op_sel_hi:[1,1,0] neg_lo:[1,0,0] neg_hi:[1,0,0]
	v_bfi_b32 v55, s1, v54, v53
	s_mov_b32 s21, 0xb93db08e
	v_pk_add_f16 v52, v55, v52
	s_mov_b32 s22, 0x3bebba0c
	v_pk_mul_f16 v55, v27, s21
	v_pk_fma_f16 v56, v25, s22, v55 op_sel:[0,0,1] op_sel_hi:[1,1,0]
	v_pk_fma_f16 v55, v25, s22, v55 op_sel:[0,0,1] op_sel_hi:[1,1,0] neg_lo:[1,0,0] neg_hi:[1,0,0]
	v_bfi_b32 v57, s1, v56, v55
	s_mov_b32 s21, 0xbbad3abb
	v_pk_add_f16 v52, v57, v52
	s_mov_b32 s22, 0x3853b482
	v_pk_mul_f16 v57, v28, s21
	v_pk_fma_f16 v58, v26, s22, v57 op_sel:[0,0,1] op_sel_hi:[1,1,0] neg_lo:[1,0,0] neg_hi:[1,0,0]
	v_pk_fma_f16 v59, v26, s22, v57 op_sel:[0,0,1] op_sel_hi:[1,1,0]
	v_bfi_b32 v59, s1, v59, v58
	v_pk_add_f16 v52, v59, v52
	v_alignbit_b32 v10, v10, v52, 16
	v_pack_b32_f16 v43, v43, v52
	v_mad_u32_u24 v52, v17, 40, v0
	ds_write2_b32 v52, v43, v10 offset0:1 offset1:2
	v_bfi_b32 v10, s1, v30, v29
	v_bfi_b32 v30, s1, v34, v33
	v_mul_f16_e32 v33, 0xbbeb, v20
	v_bfi_b32 v29, s1, v32, v31
	v_bfi_b32 v31, s1, v36, v35
	v_fma_f16 v34, v11, s9, v33
	v_mul_f16_e32 v35, 0x3482, v5
	v_add_f16_sdwa v34, v7, v34 dst_sel:DWORD dst_unused:UNUSED_PAD src0_sel:WORD_1 src1_sel:DWORD
	v_fma_f16 v36, v12, s19, v35
	v_add_f16_e32 v34, v36, v34
	v_mul_f16_e32 v36, 0x3b47, v19
	v_bfi_b32 v32, s1, v38, v37
	v_fma_f16 v37, v15, s18, v36
	v_add_f16_e32 v34, v37, v34
	v_mul_f16_e32 v37, 0xb853, v25
	v_fma_f16 v38, v16, s17, v37
	v_add_f16_e32 v34, v38, v34
	v_mul_f16_e32 v38, 0xb93d, v40
	v_fma_f16 v43, v26, s8, v38
	v_add_f16_e32 v34, v43, v34
	s_movk_i32 s21, 0x3482
	v_mul_f16_sdwa v43, v20, s0 dst_sel:DWORD dst_unused:UNUSED_PAD src0_sel:WORD_1 src1_sel:DWORD
	v_fma_f16 v59, v23, s9, -v43
	v_mul_f16_sdwa v60, v5, s21 dst_sel:DWORD dst_unused:UNUSED_PAD src0_sel:WORD_1 src1_sel:DWORD
	v_add_f16_e32 v59, v7, v59
	v_fma_f16 v61, v22, s19, -v60
	v_add_f16_e32 v59, v61, v59
	v_mul_f16_sdwa v61, v19, s15 dst_sel:DWORD dst_unused:UNUSED_PAD src0_sel:WORD_1 src1_sel:DWORD
	v_fma_f16 v62, v21, s18, -v61
	v_add_f16_e32 v59, v62, v59
	v_mul_f16_sdwa v62, v25, s20 dst_sel:DWORD dst_unused:UNUSED_PAD src0_sel:WORD_1 src1_sel:DWORD
	v_fma_f16 v63, v27, s17, -v62
	v_pk_add_f16 v10, v7, v10
	v_add_f16_e32 v59, v63, v59
	v_mul_f16_sdwa v63, v26, s8 dst_sel:DWORD dst_unused:UNUSED_PAD src0_sel:WORD_1 src1_sel:DWORD
	v_pk_add_f16 v10, v29, v10
	v_fma_f16 v64, v28, s14, -v63
	v_fma_f16 v33, v11, s9, -v33
	v_pk_add_f16 v10, v30, v10
	v_add_f16_e32 v59, v64, v59
	v_add_f16_sdwa v33, v7, v33 dst_sel:DWORD dst_unused:UNUSED_PAD src0_sel:WORD_1 src1_sel:DWORD
	v_fma_f16 v35, v12, s19, -v35
	v_fma_f16 v11, v11, s18, -v13
	v_pk_add_f16 v10, v31, v10
	v_add_f16_e32 v33, v35, v33
	v_fma_f16 v35, v15, s18, -v36
	v_fma_f16 v9, v12, s14, -v9
	v_add_f16_sdwa v11, v7, v11 dst_sel:DWORD dst_unused:UNUSED_PAD src0_sel:WORD_1 src1_sel:DWORD
	v_pk_add_f16 v10, v32, v10
	v_pack_b32_f16 v29, v59, v34
	v_add_f16_e32 v33, v35, v33
	v_fma_f16 v35, v23, s9, v43
	v_add_f16_e32 v9, v9, v11
	v_fma_f16 v11, v15, s19, -v14
	v_fma_f16 v14, v23, s17, v42
	ds_write2_b32 v52, v29, v10 offset0:3 offset1:4
	v_pk_mul_f16 v10, v23, s19 op_sel_hi:[1,0]
	v_add_f16_e32 v35, v7, v35
	v_fma_f16 v36, v22, s19, v60
	v_add_f16_e32 v14, v7, v14
	v_fma_f16 v15, v22, s18, v44
	s_movk_i32 s20, 0x3853
	v_pk_fma_f16 v23, v20, s16, v10 op_sel:[0,0,1] op_sel_hi:[1,0,0] neg_lo:[1,0,0] neg_hi:[1,0,0]
	v_pk_mul_f16 v22, v22, s17 op_sel_hi:[1,0]
	v_pk_fma_f16 v10, v20, s16, v10 op_sel:[0,0,1] op_sel_hi:[1,0,0]
	v_add_f16_e32 v35, v36, v35
	v_fma_f16 v36, v21, s18, v61
	v_add_f16_e32 v9, v11, v9
	v_fma_f16 v12, v16, s9, -v39
	v_add_f16_e32 v14, v15, v14
	v_fma_f16 v15, v21, s9, v45
	v_pk_fma_f16 v29, v5, s20, v22 op_sel:[0,0,1] op_sel_hi:[1,0,0] neg_lo:[1,0,0] neg_hi:[1,0,0]
	v_pk_mul_f16 v21, v21, s14 op_sel_hi:[1,0]
	v_pk_add_f16 v10, v7, v10 op_sel:[1,0] op_sel_hi:[0,1]
	v_pk_fma_f16 v5, v5, s20, v22 op_sel:[0,0,1] op_sel_hi:[1,0,0]
	v_add_f16_e32 v35, v36, v35
	v_fma_f16 v36, v27, s17, v62
	v_add_f16_e32 v9, v12, v9
	v_fma_f16 v12, v40, s17, -v41
	v_add_f16_e32 v14, v15, v14
	v_fma_f16 v15, v27, s14, v46
	v_pk_mul_f16 v27, v27, s18 op_sel_hi:[1,0]
	v_pk_add_f16 v5, v5, v10
	v_pk_fma_f16 v10, v19, s8, v21 op_sel:[0,0,1] op_sel_hi:[1,0,0]
	v_add_f16_e32 v35, v36, v35
	v_fma_f16 v36, v28, s14, v63
	v_add_f16_e32 v9, v12, v9
	v_alignbit_b32 v12, s0, v49, 16
	v_add_f16_e32 v14, v15, v14
	v_fma_f16 v15, v28, s19, v47
	v_pk_mul_f16 v28, v28, s9 op_sel_hi:[1,0]
	v_pk_add_f16 v5, v10, v5
	v_pk_fma_f16 v10, v25, s15, v27 op_sel:[0,0,1] op_sel_hi:[1,0,0]
	v_pk_add_f16 v12, v7, v12
	v_alignbit_b32 v13, s0, v51, 16
	v_pk_add_f16 v5, v10, v5
	v_pk_fma_f16 v10, v26, s0, v28 op_sel:[0,0,1] op_sel_hi:[1,0,0]
	v_pk_add_f16 v12, v13, v12
	v_alignbit_b32 v13, s0, v54, 16
	v_pk_add_f16 v8, v8, v24
	v_alignbit_b32 v24, s0, v7, 16
	;; [unrolled: 2-line block ×3, first 2 shown]
	v_pk_add_f16 v12, v13, v12
	v_add_f16_sdwa v13, v7, v48 dst_sel:DWORD dst_unused:UNUSED_PAD src0_sel:WORD_1 src1_sel:DWORD
	v_pk_add_f16 v24, v24, v23
	v_pk_fma_f16 v30, v19, s8, v21 op_sel:[0,0,1] op_sel_hi:[1,0,0] neg_lo:[1,0,0] neg_hi:[1,0,0]
	v_pk_add_f16 v7, v7, v10
	v_alignbit_b32 v10, s0, v29, 16
	v_pk_add_f16 v24, v29, v24
	v_pk_fma_f16 v31, v25, s15, v27 op_sel:[0,0,1] op_sel_hi:[1,0,0] neg_lo:[1,0,0] neg_hi:[1,0,0]
	v_pk_add_f16 v7, v10, v7
	v_alignbit_b32 v10, s0, v30, 16
	;; [unrolled: 4-line block ×3, first 2 shown]
	v_pk_add_f16 v24, v31, v24
	v_pk_add_f16 v7, v10, v7
	v_alignbit_b32 v10, s0, v20, 16
	v_pk_add_f16 v24, v20, v24
	v_pk_add_f16 v7, v10, v7
	v_alignbit_b32 v10, v24, v5, 16
	v_pack_b32_f16 v5, v7, v5
	s_mov_b32 s0, 0x5040100
	ds_write2_b32 v52, v5, v10 offset0:5 offset1:6
	v_perm_b32 v5, v18, v6, s0
	v_add_f16_e32 v14, v15, v14
	v_mul_f16_e32 v15, 0xba0c, v26
	ds_write2_b32 v52, v8, v5 offset1:7
	v_lshlrev_b32_e32 v5, 16, v12
	v_fma_f16 v11, v16, s17, -v37
	v_pk_mul_f16 v16, v26, s22
	v_pk_add_f16 v7, v38, v15 neg_lo:[0,1] neg_hi:[0,1]
	v_pk_add_f16 v5, v56, v5
	v_add_f16_e32 v13, v50, v13
	v_bfi_b32 v5, s1, v7, v5
	v_pack_b32_f16 v7, v11, v57
	v_bfi_b32 v8, s1, v33, v16
	v_add_f16_e32 v13, v53, v13
	v_pk_add_f16 v7, v7, v8
	v_add_f16_e32 v35, v36, v35
	v_add_f16_e32 v13, v55, v13
	v_pk_add_f16 v5, v5, v7
	v_add_f16_e32 v13, v58, v13
	v_alignbit_b32 v7, v9, v5, 16
	v_pack_b32_f16 v5, v35, v5
	ds_write2_b32 v52, v5, v7 offset0:8 offset1:9
	v_pack_b32_f16 v5, v14, v13
	ds_write_b32 v52, v5 offset:40
.LBB0_15:
	s_or_b64 exec, exec, s[6:7]
	s_movk_i32 s0, 0x75
	v_mul_lo_u16_sdwa v5, v17, s0 dst_sel:DWORD dst_unused:UNUSED_PAD src0_sel:BYTE_0 src1_sel:DWORD
	v_sub_u16_sdwa v7, v17, v5 dst_sel:DWORD dst_unused:UNUSED_PAD src0_sel:DWORD src1_sel:BYTE_1
	v_lshrrev_b16_e32 v7, 1, v7
	v_and_b32_e32 v7, 0x7f, v7
	v_add_u16_sdwa v5, v7, v5 dst_sel:DWORD dst_unused:UNUSED_PAD src0_sel:DWORD src1_sel:BYTE_1
	v_lshrrev_b16_e32 v21, 3, v5
	v_mul_lo_u16_e32 v5, 11, v21
	v_sub_u16_e32 v22, v17, v5
	v_mov_b32_e32 v5, 6
	v_mul_u32_u24_sdwa v5, v22, v5 dst_sel:DWORD dst_unused:UNUSED_PAD src0_sel:BYTE_0 src1_sel:DWORD
	v_lshlrev_b32_e32 v5, 2, v5
	s_load_dwordx2 s[4:5], s[4:5], 0x0
	s_waitcnt lgkmcnt(0)
	; wave barrier
	s_waitcnt lgkmcnt(0)
	global_load_dwordx4 v[7:10], v5, s[12:13]
	global_load_dwordx2 v[11:12], v5, s[12:13] offset:16
	ds_read2_b32 v[13:14], v0 offset1:44
	ds_read2_b32 v[15:16], v0 offset0:88 offset1:132
	ds_read2_b32 v[19:20], v0 offset0:176 offset1:220
	ds_read_b32 v5, v0 offset:1056
	s_movk_i32 s0, 0x2b26
	s_waitcnt lgkmcnt(3)
	v_lshrrev_b32_e32 v23, 16, v14
	s_waitcnt lgkmcnt(2)
	v_lshrrev_b32_e32 v24, 16, v15
	v_lshrrev_b32_e32 v25, 16, v16
	s_waitcnt lgkmcnt(1)
	v_lshrrev_b32_e32 v26, 16, v19
	;; [unrolled: 3-line block ×3, first 2 shown]
	s_movk_i32 s1, 0x3b00
	s_mov_b32 s6, 0xbcab
	s_waitcnt lgkmcnt(0)
	; wave barrier
	s_waitcnt vmcnt(1)
	v_mul_f16_sdwa v29, v7, v23 dst_sel:DWORD dst_unused:UNUSED_PAD src0_sel:WORD_1 src1_sel:DWORD
	v_mul_f16_sdwa v30, v7, v14 dst_sel:DWORD dst_unused:UNUSED_PAD src0_sel:WORD_1 src1_sel:DWORD
	v_mul_f16_sdwa v31, v8, v24 dst_sel:DWORD dst_unused:UNUSED_PAD src0_sel:WORD_1 src1_sel:DWORD
	v_mul_f16_sdwa v32, v8, v15 dst_sel:DWORD dst_unused:UNUSED_PAD src0_sel:WORD_1 src1_sel:DWORD
	v_mul_f16_sdwa v33, v9, v25 dst_sel:DWORD dst_unused:UNUSED_PAD src0_sel:WORD_1 src1_sel:DWORD
	v_mul_f16_sdwa v34, v9, v16 dst_sel:DWORD dst_unused:UNUSED_PAD src0_sel:WORD_1 src1_sel:DWORD
	v_mul_f16_sdwa v35, v10, v26 dst_sel:DWORD dst_unused:UNUSED_PAD src0_sel:WORD_1 src1_sel:DWORD
	v_mul_f16_sdwa v36, v10, v19 dst_sel:DWORD dst_unused:UNUSED_PAD src0_sel:WORD_1 src1_sel:DWORD
	s_waitcnt vmcnt(0)
	v_mul_f16_sdwa v37, v11, v27 dst_sel:DWORD dst_unused:UNUSED_PAD src0_sel:WORD_1 src1_sel:DWORD
	v_mul_f16_sdwa v38, v11, v20 dst_sel:DWORD dst_unused:UNUSED_PAD src0_sel:WORD_1 src1_sel:DWORD
	;; [unrolled: 1-line block ×4, first 2 shown]
	v_fma_f16 v14, v7, v14, -v29
	v_fma_f16 v7, v7, v23, v30
	v_fma_f16 v15, v8, v15, -v31
	v_fma_f16 v8, v8, v24, v32
	;; [unrolled: 2-line block ×6, first 2 shown]
	v_add_f16_e32 v23, v14, v5
	v_add_f16_e32 v24, v7, v12
	v_sub_f16_e32 v5, v14, v5
	v_sub_f16_e32 v7, v7, v12
	v_add_f16_e32 v12, v15, v20
	v_add_f16_e32 v14, v8, v11
	v_sub_f16_e32 v15, v15, v20
	v_sub_f16_e32 v8, v8, v11
	;; [unrolled: 4-line block ×4, first 2 shown]
	v_sub_f16_e32 v23, v23, v11
	v_sub_f16_e32 v24, v24, v20
	;; [unrolled: 1-line block ×4, first 2 shown]
	v_add_f16_e32 v10, v11, v10
	v_add_f16_e32 v11, v20, v19
	v_mul_f16_e32 v19, 0x3a52, v23
	v_mul_f16_e32 v20, 0x3a52, v24
	;; [unrolled: 1-line block ×4, first 2 shown]
	v_add_f16_e32 v31, v10, v13
	v_add_f16_sdwa v32, v11, v13 dst_sel:DWORD dst_unused:UNUSED_PAD src0_sel:DWORD src1_sel:WORD_1
	v_fma_f16 v12, v12, s0, v19
	v_fma_f16 v13, v14, s0, v20
	s_movk_i32 s0, 0x39e0
	v_add_f16_e32 v27, v16, v15
	v_add_f16_e32 v28, v9, v8
	v_sub_f16_e32 v29, v16, v15
	v_sub_f16_e32 v30, v9, v8
	v_fma_f16 v14, v25, s0, -v23
	v_fma_f16 v23, v26, s0, -v24
	s_mov_b32 s0, 0xb9e0
	v_sub_f16_e32 v16, v5, v16
	v_sub_f16_e32 v9, v7, v9
	;; [unrolled: 1-line block ×4, first 2 shown]
	v_add_f16_e32 v5, v27, v5
	v_add_f16_e32 v7, v28, v7
	v_mul_f16_e32 v27, 0xb846, v29
	v_mul_f16_e32 v28, 0xb846, v30
	v_fma_f16 v19, v25, s0, -v19
	v_fma_f16 v20, v26, s0, -v20
	s_movk_i32 s0, 0x3574
	v_mul_f16_e32 v29, 0x3b00, v15
	v_mul_f16_e32 v30, 0x3b00, v8
	v_fma_f16 v24, v16, s0, v27
	v_fma_f16 v25, v9, s0, v28
	s_mov_b32 s0, 0xb574
	v_fma_f16 v10, v10, s6, v31
	v_fma_f16 v11, v11, s6, v32
	v_fma_f16 v8, v8, s1, -v28
	v_fma_f16 v16, v16, s0, -v29
	v_fma_f16 v9, v9, s0, -v30
	s_movk_i32 s0, 0x370e
	v_add_f16_e32 v12, v12, v10
	v_add_f16_e32 v26, v13, v11
	;; [unrolled: 1-line block ×4, first 2 shown]
	v_fma_f16 v8, v7, s0, v8
	v_fma_f16 v9, v7, s0, v9
	v_fma_f16 v15, v15, s1, -v27
	v_add_f16_e32 v14, v23, v11
	v_add_f16_e32 v11, v20, v11
	v_fma_f16 v19, v5, s0, v24
	v_fma_f16 v20, v7, s0, v25
	v_add_f16_e32 v24, v9, v10
	v_sub_f16_e32 v27, v13, v8
	v_add_f16_e32 v7, v8, v13
	v_sub_f16_e32 v8, v10, v9
	v_mov_b32_e32 v10, 2
	v_fma_f16 v15, v5, s0, v15
	v_fma_f16 v5, v5, s0, v16
	v_add_f16_e32 v16, v20, v12
	v_sub_f16_e32 v23, v26, v19
	v_mul_u32_u24_e32 v9, 0x134, v21
	v_lshlrev_b32_sdwa v10, v10, v22 dst_sel:DWORD dst_unused:UNUSED_PAD src0_sel:DWORD src1_sel:BYTE_0
	v_sub_f16_e32 v25, v11, v5
	v_add_f16_e32 v28, v15, v14
	v_sub_f16_e32 v13, v14, v15
	v_add_f16_e32 v14, v5, v11
	v_add3_u32 v9, 0, v9, v10
	v_pack_b32_f16 v10, v31, v32
	v_pack_b32_f16 v11, v16, v23
	ds_write2_b32 v9, v10, v11 offset1:11
	v_pack_b32_f16 v10, v24, v25
	v_pack_b32_f16 v11, v27, v28
	v_sub_f16_e32 v5, v12, v20
	v_add_f16_e32 v15, v19, v26
	ds_write2_b32 v9, v10, v11 offset0:22 offset1:33
	v_pack_b32_f16 v10, v7, v13
	v_pack_b32_f16 v11, v8, v14
	ds_write2_b32 v9, v10, v11 offset0:44 offset1:55
	v_pack_b32_f16 v10, v5, v15
	ds_write_b32 v9, v10 offset:264
	s_waitcnt lgkmcnt(0)
	; wave barrier
	s_waitcnt lgkmcnt(0)
	ds_read2_b32 v[9:10], v0 offset1:77
	ds_read2_b32 v[11:12], v0 offset0:154 offset1:231
	v_cmp_gt_u32_e64 s[0:1], 33, v17
	s_and_saveexec_b64 s[6:7], s[0:1]
	s_cbranch_execz .LBB0_17
; %bb.16:
	v_add_u32_e32 v5, 0x200, v0
	ds_read2_b32 v[7:8], v0 offset0:44 offset1:121
	ds_read2_b32 v[5:6], v5 offset0:70 offset1:147
	s_waitcnt lgkmcnt(1)
	v_lshrrev_b32_e32 v13, 16, v7
	v_lshrrev_b32_e32 v14, 16, v8
	s_waitcnt lgkmcnt(0)
	v_lshrrev_b32_e32 v15, 16, v5
	v_lshrrev_b32_e32 v18, 16, v6
.LBB0_17:
	s_or_b64 exec, exec, s[6:7]
	v_mul_u32_u24_e32 v16, 3, v17
	v_lshlrev_b32_e32 v16, 2, v16
	global_load_dwordx3 v[19:21], v16, s[12:13] offset:264
	s_waitcnt lgkmcnt(0)
	v_lshrrev_b32_e32 v22, 16, v12
	v_lshrrev_b32_e32 v23, 16, v11
	;; [unrolled: 1-line block ×4, first 2 shown]
	s_waitcnt lgkmcnt(0)
	; wave barrier
	s_waitcnt vmcnt(0)
	v_mul_f16_sdwa v25, v19, v24 dst_sel:DWORD dst_unused:UNUSED_PAD src0_sel:WORD_1 src1_sel:DWORD
	v_mul_f16_sdwa v26, v19, v10 dst_sel:DWORD dst_unused:UNUSED_PAD src0_sel:WORD_1 src1_sel:DWORD
	;; [unrolled: 1-line block ×6, first 2 shown]
	v_fma_f16 v10, v19, v10, -v25
	v_fma_f16 v19, v19, v24, v26
	v_fma_f16 v11, v20, v11, -v27
	v_fma_f16 v20, v20, v23, v28
	;; [unrolled: 2-line block ×3, first 2 shown]
	v_sub_f16_e32 v11, v9, v11
	v_sub_f16_e32 v20, v16, v20
	;; [unrolled: 1-line block ×4, first 2 shown]
	v_fma_f16 v9, v9, 2.0, -v11
	v_fma_f16 v16, v16, 2.0, -v20
	;; [unrolled: 1-line block ×4, first 2 shown]
	v_sub_f16_e32 v21, v11, v21
	v_add_f16_e32 v12, v20, v12
	v_sub_f16_e32 v10, v9, v10
	v_sub_f16_e32 v19, v16, v19
	v_fma_f16 v11, v11, 2.0, -v21
	v_fma_f16 v20, v20, 2.0, -v12
	;; [unrolled: 1-line block ×4, first 2 shown]
	v_pack_b32_f16 v11, v11, v20
	v_pack_b32_f16 v9, v9, v16
	v_pack_b32_f16 v12, v21, v12
	v_pack_b32_f16 v10, v10, v19
	ds_write2_b32 v0, v9, v11 offset1:77
	ds_write2_b32 v0, v10, v12 offset0:154 offset1:231
	s_and_saveexec_b64 s[6:7], s[0:1]
	s_cbranch_execz .LBB0_19
; %bb.18:
	v_add_u32_e32 v9, 44, v17
	v_subrev_u32_e32 v10, 33, v17
	v_cndmask_b32_e64 v9, v10, v9, s[0:1]
	v_mul_i32_i24_e32 v9, 3, v9
	v_mov_b32_e32 v10, 0
	v_lshlrev_b64 v[9:10], 2, v[9:10]
	v_mov_b32_e32 v11, s13
	v_add_co_u32_e64 v9, s[0:1], s12, v9
	v_addc_co_u32_e64 v10, s[0:1], v11, v10, s[0:1]
	global_load_dwordx3 v[9:11], v[9:10], off offset:264
	v_add_u32_e32 v12, 0x200, v0
	s_waitcnt vmcnt(0)
	v_mul_f16_sdwa v16, v15, v10 dst_sel:DWORD dst_unused:UNUSED_PAD src0_sel:DWORD src1_sel:WORD_1
	v_mul_f16_sdwa v19, v8, v9 dst_sel:DWORD dst_unused:UNUSED_PAD src0_sel:DWORD src1_sel:WORD_1
	;; [unrolled: 1-line block ×6, first 2 shown]
	v_fma_f16 v5, v5, v10, -v16
	v_fma_f16 v14, v14, v9, v19
	v_fma_f16 v16, v18, v11, v20
	;; [unrolled: 1-line block ×3, first 2 shown]
	v_fma_f16 v8, v8, v9, -v22
	v_fma_f16 v6, v6, v11, -v23
	v_sub_f16_e32 v5, v7, v5
	v_sub_f16_e32 v9, v14, v16
	;; [unrolled: 1-line block ×5, first 2 shown]
	v_add_f16_e32 v15, v10, v6
	v_fma_f16 v7, v7, 2.0, -v5
	v_fma_f16 v6, v8, 2.0, -v6
	;; [unrolled: 1-line block ×4, first 2 shown]
	v_sub_f16_e32 v6, v7, v6
	v_sub_f16_e32 v9, v8, v9
	v_fma_f16 v5, v5, 2.0, -v11
	v_fma_f16 v10, v10, 2.0, -v15
	;; [unrolled: 1-line block ×4, first 2 shown]
	v_pack_b32_f16 v5, v5, v10
	v_pack_b32_f16 v7, v7, v8
	;; [unrolled: 1-line block ×4, first 2 shown]
	ds_write2_b32 v0, v7, v5 offset0:44 offset1:121
	ds_write2_b32 v12, v6, v11 offset0:70 offset1:147
.LBB0_19:
	s_or_b64 exec, exec, s[6:7]
	s_waitcnt lgkmcnt(0)
	; wave barrier
	s_waitcnt lgkmcnt(0)
	s_and_saveexec_b64 s[0:1], vcc
	s_cbranch_execz .LBB0_21
; %bb.20:
	v_mul_lo_u32 v8, s5, v3
	v_mul_lo_u32 v9, s4, v4
	v_mad_u64_u32 v[3:4], s[0:1], s4, v3, 0
	v_mad_u64_u32 v[5:6], s[0:1], s2, v17, 0
	v_add3_u32 v4, v4, v9, v8
	v_lshlrev_b64 v[3:4], 2, v[3:4]
	v_mov_b32_e32 v0, v6
	v_mad_u64_u32 v[6:7], s[0:1], s3, v17, v[0:1]
	v_mov_b32_e32 v0, s11
	v_add_co_u32_e32 v3, vcc, s10, v3
	v_addc_co_u32_e32 v4, vcc, v0, v4, vcc
	v_lshlrev_b64 v[0:1], 2, v[1:2]
	v_lshl_add_u32 v9, v17, 2, 0
	v_add_co_u32_e32 v10, vcc, v3, v0
	v_addc_co_u32_e32 v11, vcc, v4, v1, vcc
	v_add_u32_e32 v4, 44, v17
	v_mad_u64_u32 v[2:3], s[0:1], s2, v4, 0
	ds_read2_b32 v[7:8], v9 offset1:44
	v_lshlrev_b64 v[0:1], 2, v[5:6]
	v_mad_u64_u32 v[3:4], s[0:1], s3, v4, v[3:4]
	v_add_u32_e32 v6, 0x58, v17
	v_mad_u64_u32 v[4:5], s[0:1], s2, v6, 0
	v_add_co_u32_e32 v0, vcc, v10, v0
	v_addc_co_u32_e32 v1, vcc, v11, v1, vcc
	s_waitcnt lgkmcnt(0)
	global_store_dword v[0:1], v7, off
	v_lshlrev_b64 v[0:1], 2, v[2:3]
	v_mov_b32_e32 v2, v5
	v_mad_u64_u32 v[2:3], s[0:1], s3, v6, v[2:3]
	v_add_u32_e32 v6, 0x84, v17
	v_add_co_u32_e32 v0, vcc, v10, v0
	v_mov_b32_e32 v5, v2
	v_lshlrev_b64 v[2:3], 2, v[4:5]
	v_mad_u64_u32 v[4:5], s[0:1], s2, v6, 0
	v_addc_co_u32_e32 v1, vcc, v11, v1, vcc
	global_store_dword v[0:1], v8, off
	ds_read2_b32 v[0:1], v9 offset0:88 offset1:132
	v_mad_u64_u32 v[5:6], s[0:1], s3, v6, v[5:6]
	v_add_u32_e32 v8, 0xb0, v17
	v_mad_u64_u32 v[6:7], s[0:1], s2, v8, 0
	v_add_co_u32_e32 v2, vcc, v10, v2
	v_addc_co_u32_e32 v3, vcc, v11, v3, vcc
	s_waitcnt lgkmcnt(0)
	global_store_dword v[2:3], v0, off
	v_mov_b32_e32 v0, v7
	v_lshlrev_b64 v[2:3], 2, v[4:5]
	v_mad_u64_u32 v[4:5], s[0:1], s3, v8, v[0:1]
	v_add_co_u32_e32 v2, vcc, v10, v2
	v_addc_co_u32_e32 v3, vcc, v11, v3, vcc
	v_mov_b32_e32 v7, v4
	global_store_dword v[2:3], v1, off
	v_lshlrev_b64 v[2:3], 2, v[6:7]
	v_add_u32_e32 v6, 0xdc, v17
	v_mad_u64_u32 v[4:5], s[0:1], s2, v6, 0
	ds_read2_b32 v[0:1], v9 offset0:176 offset1:220
	v_add_u32_e32 v8, 0x108, v17
	v_mad_u64_u32 v[5:6], s[0:1], s3, v6, v[5:6]
	v_mad_u64_u32 v[6:7], s[0:1], s2, v8, 0
	v_add_co_u32_e32 v2, vcc, v10, v2
	v_addc_co_u32_e32 v3, vcc, v11, v3, vcc
	s_waitcnt lgkmcnt(0)
	global_store_dword v[2:3], v0, off
	v_mov_b32_e32 v0, v7
	v_lshlrev_b64 v[2:3], 2, v[4:5]
	v_mad_u64_u32 v[4:5], s[0:1], s3, v8, v[0:1]
	v_add_co_u32_e32 v2, vcc, v10, v2
	v_addc_co_u32_e32 v3, vcc, v11, v3, vcc
	global_store_dword v[2:3], v1, off
	v_mov_b32_e32 v7, v4
	ds_read_b32 v2, v9 offset:1056
	v_lshlrev_b64 v[0:1], 2, v[6:7]
	v_add_co_u32_e32 v0, vcc, v10, v0
	v_addc_co_u32_e32 v1, vcc, v11, v1, vcc
	s_waitcnt lgkmcnt(0)
	global_store_dword v[0:1], v2, off
.LBB0_21:
	s_endpgm
	.section	.rodata,"a",@progbits
	.p2align	6, 0x0
	.amdhsa_kernel fft_rtc_fwd_len308_factors_11_7_4_wgs_44_tpt_44_half_op_CI_CI_sbrr_dirReg
		.amdhsa_group_segment_fixed_size 0
		.amdhsa_private_segment_fixed_size 0
		.amdhsa_kernarg_size 104
		.amdhsa_user_sgpr_count 6
		.amdhsa_user_sgpr_private_segment_buffer 1
		.amdhsa_user_sgpr_dispatch_ptr 0
		.amdhsa_user_sgpr_queue_ptr 0
		.amdhsa_user_sgpr_kernarg_segment_ptr 1
		.amdhsa_user_sgpr_dispatch_id 0
		.amdhsa_user_sgpr_flat_scratch_init 0
		.amdhsa_user_sgpr_private_segment_size 0
		.amdhsa_uses_dynamic_stack 0
		.amdhsa_system_sgpr_private_segment_wavefront_offset 0
		.amdhsa_system_sgpr_workgroup_id_x 1
		.amdhsa_system_sgpr_workgroup_id_y 0
		.amdhsa_system_sgpr_workgroup_id_z 0
		.amdhsa_system_sgpr_workgroup_info 0
		.amdhsa_system_vgpr_workitem_id 0
		.amdhsa_next_free_vgpr 65
		.amdhsa_next_free_sgpr 32
		.amdhsa_reserve_vcc 1
		.amdhsa_reserve_flat_scratch 0
		.amdhsa_float_round_mode_32 0
		.amdhsa_float_round_mode_16_64 0
		.amdhsa_float_denorm_mode_32 3
		.amdhsa_float_denorm_mode_16_64 3
		.amdhsa_dx10_clamp 1
		.amdhsa_ieee_mode 1
		.amdhsa_fp16_overflow 0
		.amdhsa_exception_fp_ieee_invalid_op 0
		.amdhsa_exception_fp_denorm_src 0
		.amdhsa_exception_fp_ieee_div_zero 0
		.amdhsa_exception_fp_ieee_overflow 0
		.amdhsa_exception_fp_ieee_underflow 0
		.amdhsa_exception_fp_ieee_inexact 0
		.amdhsa_exception_int_div_zero 0
	.end_amdhsa_kernel
	.text
.Lfunc_end0:
	.size	fft_rtc_fwd_len308_factors_11_7_4_wgs_44_tpt_44_half_op_CI_CI_sbrr_dirReg, .Lfunc_end0-fft_rtc_fwd_len308_factors_11_7_4_wgs_44_tpt_44_half_op_CI_CI_sbrr_dirReg
                                        ; -- End function
	.section	.AMDGPU.csdata,"",@progbits
; Kernel info:
; codeLenInByte = 6096
; NumSgprs: 36
; NumVgprs: 65
; ScratchSize: 0
; MemoryBound: 0
; FloatMode: 240
; IeeeMode: 1
; LDSByteSize: 0 bytes/workgroup (compile time only)
; SGPRBlocks: 4
; VGPRBlocks: 16
; NumSGPRsForWavesPerEU: 36
; NumVGPRsForWavesPerEU: 65
; Occupancy: 3
; WaveLimiterHint : 1
; COMPUTE_PGM_RSRC2:SCRATCH_EN: 0
; COMPUTE_PGM_RSRC2:USER_SGPR: 6
; COMPUTE_PGM_RSRC2:TRAP_HANDLER: 0
; COMPUTE_PGM_RSRC2:TGID_X_EN: 1
; COMPUTE_PGM_RSRC2:TGID_Y_EN: 0
; COMPUTE_PGM_RSRC2:TGID_Z_EN: 0
; COMPUTE_PGM_RSRC2:TIDIG_COMP_CNT: 0
	.type	__hip_cuid_241cf8d58ad746d5,@object ; @__hip_cuid_241cf8d58ad746d5
	.section	.bss,"aw",@nobits
	.globl	__hip_cuid_241cf8d58ad746d5
__hip_cuid_241cf8d58ad746d5:
	.byte	0                               ; 0x0
	.size	__hip_cuid_241cf8d58ad746d5, 1

	.ident	"AMD clang version 19.0.0git (https://github.com/RadeonOpenCompute/llvm-project roc-6.4.0 25133 c7fe45cf4b819c5991fe208aaa96edf142730f1d)"
	.section	".note.GNU-stack","",@progbits
	.addrsig
	.addrsig_sym __hip_cuid_241cf8d58ad746d5
	.amdgpu_metadata
---
amdhsa.kernels:
  - .args:
      - .actual_access:  read_only
        .address_space:  global
        .offset:         0
        .size:           8
        .value_kind:     global_buffer
      - .offset:         8
        .size:           8
        .value_kind:     by_value
      - .actual_access:  read_only
        .address_space:  global
        .offset:         16
        .size:           8
        .value_kind:     global_buffer
      - .actual_access:  read_only
        .address_space:  global
        .offset:         24
        .size:           8
        .value_kind:     global_buffer
      - .actual_access:  read_only
        .address_space:  global
        .offset:         32
        .size:           8
        .value_kind:     global_buffer
      - .offset:         40
        .size:           8
        .value_kind:     by_value
      - .actual_access:  read_only
        .address_space:  global
        .offset:         48
        .size:           8
        .value_kind:     global_buffer
      - .actual_access:  read_only
        .address_space:  global
        .offset:         56
        .size:           8
        .value_kind:     global_buffer
      - .offset:         64
        .size:           4
        .value_kind:     by_value
      - .actual_access:  read_only
        .address_space:  global
        .offset:         72
        .size:           8
        .value_kind:     global_buffer
      - .actual_access:  read_only
        .address_space:  global
        .offset:         80
        .size:           8
        .value_kind:     global_buffer
      - .actual_access:  read_only
        .address_space:  global
        .offset:         88
        .size:           8
        .value_kind:     global_buffer
      - .actual_access:  write_only
        .address_space:  global
        .offset:         96
        .size:           8
        .value_kind:     global_buffer
    .group_segment_fixed_size: 0
    .kernarg_segment_align: 8
    .kernarg_segment_size: 104
    .language:       OpenCL C
    .language_version:
      - 2
      - 0
    .max_flat_workgroup_size: 44
    .name:           fft_rtc_fwd_len308_factors_11_7_4_wgs_44_tpt_44_half_op_CI_CI_sbrr_dirReg
    .private_segment_fixed_size: 0
    .sgpr_count:     36
    .sgpr_spill_count: 0
    .symbol:         fft_rtc_fwd_len308_factors_11_7_4_wgs_44_tpt_44_half_op_CI_CI_sbrr_dirReg.kd
    .uniform_work_group_size: 1
    .uses_dynamic_stack: false
    .vgpr_count:     65
    .vgpr_spill_count: 0
    .wavefront_size: 64
amdhsa.target:   amdgcn-amd-amdhsa--gfx906
amdhsa.version:
  - 1
  - 2
...

	.end_amdgpu_metadata
